;; amdgpu-corpus repo=ROCm/rocFFT kind=compiled arch=gfx1030 opt=O3
	.text
	.amdgcn_target "amdgcn-amd-amdhsa--gfx1030"
	.amdhsa_code_object_version 6
	.protected	fft_rtc_fwd_len308_factors_11_7_4_wgs_44_tpt_44_half_ip_CI_unitstride_sbrr_dirReg ; -- Begin function fft_rtc_fwd_len308_factors_11_7_4_wgs_44_tpt_44_half_ip_CI_unitstride_sbrr_dirReg
	.globl	fft_rtc_fwd_len308_factors_11_7_4_wgs_44_tpt_44_half_ip_CI_unitstride_sbrr_dirReg
	.p2align	8
	.type	fft_rtc_fwd_len308_factors_11_7_4_wgs_44_tpt_44_half_ip_CI_unitstride_sbrr_dirReg,@function
fft_rtc_fwd_len308_factors_11_7_4_wgs_44_tpt_44_half_ip_CI_unitstride_sbrr_dirReg: ; @fft_rtc_fwd_len308_factors_11_7_4_wgs_44_tpt_44_half_ip_CI_unitstride_sbrr_dirReg
; %bb.0:
	s_clause 0x2
	s_load_dwordx4 s[8:11], s[4:5], 0x0
	s_load_dwordx2 s[2:3], s[4:5], 0x50
	s_load_dwordx2 s[12:13], s[4:5], 0x18
	v_mul_u32_u24_e32 v1, 0x5d2, v0
	v_mov_b32_e32 v3, 0
	v_add_nc_u32_sdwa v5, s6, v1 dst_sel:DWORD dst_unused:UNUSED_PAD src0_sel:DWORD src1_sel:WORD_1
	v_mov_b32_e32 v1, 0
	v_mov_b32_e32 v6, v3
	v_mov_b32_e32 v2, 0
	s_waitcnt lgkmcnt(0)
	v_cmp_lt_u64_e64 s0, s[10:11], 2
	s_and_b32 vcc_lo, exec_lo, s0
	s_cbranch_vccnz .LBB0_8
; %bb.1:
	s_load_dwordx2 s[0:1], s[4:5], 0x10
	v_mov_b32_e32 v1, 0
	s_add_u32 s6, s12, 8
	v_mov_b32_e32 v2, 0
	s_addc_u32 s7, s13, 0
	s_mov_b64 s[16:17], 1
	s_waitcnt lgkmcnt(0)
	s_add_u32 s14, s0, 8
	s_addc_u32 s15, s1, 0
.LBB0_2:                                ; =>This Inner Loop Header: Depth=1
	s_load_dwordx2 s[18:19], s[14:15], 0x0
                                        ; implicit-def: $vgpr7_vgpr8
	s_mov_b32 s0, exec_lo
	s_waitcnt lgkmcnt(0)
	v_or_b32_e32 v4, s19, v6
	v_cmpx_ne_u64_e32 0, v[3:4]
	s_xor_b32 s1, exec_lo, s0
	s_cbranch_execz .LBB0_4
; %bb.3:                                ;   in Loop: Header=BB0_2 Depth=1
	v_cvt_f32_u32_e32 v4, s18
	v_cvt_f32_u32_e32 v7, s19
	s_sub_u32 s0, 0, s18
	s_subb_u32 s20, 0, s19
	v_fmac_f32_e32 v4, 0x4f800000, v7
	v_rcp_f32_e32 v4, v4
	v_mul_f32_e32 v4, 0x5f7ffffc, v4
	v_mul_f32_e32 v7, 0x2f800000, v4
	v_trunc_f32_e32 v7, v7
	v_fmac_f32_e32 v4, 0xcf800000, v7
	v_cvt_u32_f32_e32 v7, v7
	v_cvt_u32_f32_e32 v4, v4
	v_mul_lo_u32 v8, s0, v7
	v_mul_hi_u32 v9, s0, v4
	v_mul_lo_u32 v10, s20, v4
	v_add_nc_u32_e32 v8, v9, v8
	v_mul_lo_u32 v9, s0, v4
	v_add_nc_u32_e32 v8, v8, v10
	v_mul_hi_u32 v10, v4, v9
	v_mul_lo_u32 v11, v4, v8
	v_mul_hi_u32 v12, v4, v8
	v_mul_hi_u32 v13, v7, v9
	v_mul_lo_u32 v9, v7, v9
	v_mul_hi_u32 v14, v7, v8
	v_mul_lo_u32 v8, v7, v8
	v_add_co_u32 v10, vcc_lo, v10, v11
	v_add_co_ci_u32_e32 v11, vcc_lo, 0, v12, vcc_lo
	v_add_co_u32 v9, vcc_lo, v10, v9
	v_add_co_ci_u32_e32 v9, vcc_lo, v11, v13, vcc_lo
	v_add_co_ci_u32_e32 v10, vcc_lo, 0, v14, vcc_lo
	v_add_co_u32 v8, vcc_lo, v9, v8
	v_add_co_ci_u32_e32 v9, vcc_lo, 0, v10, vcc_lo
	v_add_co_u32 v4, vcc_lo, v4, v8
	v_add_co_ci_u32_e32 v7, vcc_lo, v7, v9, vcc_lo
	v_mul_hi_u32 v8, s0, v4
	v_mul_lo_u32 v10, s20, v4
	v_mul_lo_u32 v9, s0, v7
	v_add_nc_u32_e32 v8, v8, v9
	v_mul_lo_u32 v9, s0, v4
	v_add_nc_u32_e32 v8, v8, v10
	v_mul_hi_u32 v10, v4, v9
	v_mul_lo_u32 v11, v4, v8
	v_mul_hi_u32 v12, v4, v8
	v_mul_hi_u32 v13, v7, v9
	v_mul_lo_u32 v9, v7, v9
	v_mul_hi_u32 v14, v7, v8
	v_mul_lo_u32 v8, v7, v8
	v_add_co_u32 v10, vcc_lo, v10, v11
	v_add_co_ci_u32_e32 v11, vcc_lo, 0, v12, vcc_lo
	v_add_co_u32 v9, vcc_lo, v10, v9
	v_add_co_ci_u32_e32 v9, vcc_lo, v11, v13, vcc_lo
	v_add_co_ci_u32_e32 v10, vcc_lo, 0, v14, vcc_lo
	v_add_co_u32 v8, vcc_lo, v9, v8
	v_add_co_ci_u32_e32 v9, vcc_lo, 0, v10, vcc_lo
	v_add_co_u32 v4, vcc_lo, v4, v8
	v_add_co_ci_u32_e32 v11, vcc_lo, v7, v9, vcc_lo
	v_mul_hi_u32 v13, v5, v4
	v_mad_u64_u32 v[9:10], null, v6, v4, 0
	v_mad_u64_u32 v[7:8], null, v5, v11, 0
	;; [unrolled: 1-line block ×3, first 2 shown]
	v_add_co_u32 v4, vcc_lo, v13, v7
	v_add_co_ci_u32_e32 v7, vcc_lo, 0, v8, vcc_lo
	v_add_co_u32 v4, vcc_lo, v4, v9
	v_add_co_ci_u32_e32 v4, vcc_lo, v7, v10, vcc_lo
	v_add_co_ci_u32_e32 v7, vcc_lo, 0, v12, vcc_lo
	v_add_co_u32 v4, vcc_lo, v4, v11
	v_add_co_ci_u32_e32 v9, vcc_lo, 0, v7, vcc_lo
	v_mul_lo_u32 v10, s19, v4
	v_mad_u64_u32 v[7:8], null, s18, v4, 0
	v_mul_lo_u32 v11, s18, v9
	v_sub_co_u32 v7, vcc_lo, v5, v7
	v_add3_u32 v8, v8, v11, v10
	v_sub_nc_u32_e32 v10, v6, v8
	v_subrev_co_ci_u32_e64 v10, s0, s19, v10, vcc_lo
	v_add_co_u32 v11, s0, v4, 2
	v_add_co_ci_u32_e64 v12, s0, 0, v9, s0
	v_sub_co_u32 v13, s0, v7, s18
	v_sub_co_ci_u32_e32 v8, vcc_lo, v6, v8, vcc_lo
	v_subrev_co_ci_u32_e64 v10, s0, 0, v10, s0
	v_cmp_le_u32_e32 vcc_lo, s18, v13
	v_cmp_eq_u32_e64 s0, s19, v8
	v_cndmask_b32_e64 v13, 0, -1, vcc_lo
	v_cmp_le_u32_e32 vcc_lo, s19, v10
	v_cndmask_b32_e64 v14, 0, -1, vcc_lo
	v_cmp_le_u32_e32 vcc_lo, s18, v7
	;; [unrolled: 2-line block ×3, first 2 shown]
	v_cndmask_b32_e64 v15, 0, -1, vcc_lo
	v_cmp_eq_u32_e32 vcc_lo, s19, v10
	v_cndmask_b32_e64 v7, v15, v7, s0
	v_cndmask_b32_e32 v10, v14, v13, vcc_lo
	v_add_co_u32 v13, vcc_lo, v4, 1
	v_add_co_ci_u32_e32 v14, vcc_lo, 0, v9, vcc_lo
	v_cmp_ne_u32_e32 vcc_lo, 0, v10
	v_cndmask_b32_e32 v8, v14, v12, vcc_lo
	v_cndmask_b32_e32 v10, v13, v11, vcc_lo
	v_cmp_ne_u32_e32 vcc_lo, 0, v7
	v_cndmask_b32_e32 v8, v9, v8, vcc_lo
	v_cndmask_b32_e32 v7, v4, v10, vcc_lo
.LBB0_4:                                ;   in Loop: Header=BB0_2 Depth=1
	s_andn2_saveexec_b32 s0, s1
	s_cbranch_execz .LBB0_6
; %bb.5:                                ;   in Loop: Header=BB0_2 Depth=1
	v_cvt_f32_u32_e32 v4, s18
	s_sub_i32 s1, 0, s18
	v_rcp_iflag_f32_e32 v4, v4
	v_mul_f32_e32 v4, 0x4f7ffffe, v4
	v_cvt_u32_f32_e32 v4, v4
	v_mul_lo_u32 v7, s1, v4
	v_mul_hi_u32 v7, v4, v7
	v_add_nc_u32_e32 v4, v4, v7
	v_mul_hi_u32 v4, v5, v4
	v_mul_lo_u32 v7, v4, s18
	v_add_nc_u32_e32 v8, 1, v4
	v_sub_nc_u32_e32 v7, v5, v7
	v_subrev_nc_u32_e32 v9, s18, v7
	v_cmp_le_u32_e32 vcc_lo, s18, v7
	v_cndmask_b32_e32 v7, v7, v9, vcc_lo
	v_cndmask_b32_e32 v4, v4, v8, vcc_lo
	v_cmp_le_u32_e32 vcc_lo, s18, v7
	v_add_nc_u32_e32 v8, 1, v4
	v_cndmask_b32_e32 v7, v4, v8, vcc_lo
	v_mov_b32_e32 v8, v3
.LBB0_6:                                ;   in Loop: Header=BB0_2 Depth=1
	s_or_b32 exec_lo, exec_lo, s0
	s_load_dwordx2 s[0:1], s[6:7], 0x0
	v_mul_lo_u32 v4, v8, s18
	v_mul_lo_u32 v11, v7, s19
	v_mad_u64_u32 v[9:10], null, v7, s18, 0
	s_add_u32 s16, s16, 1
	s_addc_u32 s17, s17, 0
	s_add_u32 s6, s6, 8
	s_addc_u32 s7, s7, 0
	;; [unrolled: 2-line block ×3, first 2 shown]
	v_add3_u32 v4, v10, v11, v4
	v_sub_co_u32 v5, vcc_lo, v5, v9
	v_sub_co_ci_u32_e32 v4, vcc_lo, v6, v4, vcc_lo
	s_waitcnt lgkmcnt(0)
	v_mul_lo_u32 v6, s1, v5
	v_mul_lo_u32 v4, s0, v4
	v_mad_u64_u32 v[1:2], null, s0, v5, v[1:2]
	v_cmp_ge_u64_e64 s0, s[16:17], s[10:11]
	s_and_b32 vcc_lo, exec_lo, s0
	v_add3_u32 v2, v6, v2, v4
	s_cbranch_vccnz .LBB0_9
; %bb.7:                                ;   in Loop: Header=BB0_2 Depth=1
	v_mov_b32_e32 v5, v7
	v_mov_b32_e32 v6, v8
	s_branch .LBB0_2
.LBB0_8:
	v_mov_b32_e32 v8, v6
	v_mov_b32_e32 v7, v5
.LBB0_9:
	s_lshl_b64 s[0:1], s[10:11], 3
	v_mul_hi_u32 v3, 0x5d1745e, v0
	s_add_u32 s0, s12, s0
	s_addc_u32 s1, s13, s1
	s_load_dwordx2 s[0:1], s[0:1], 0x0
	s_load_dwordx2 s[4:5], s[4:5], 0x20
	v_mul_u32_u24_e32 v3, 44, v3
	v_sub_nc_u32_e32 v0, v0, v3
	v_lshl_add_u32 v16, v0, 2, 0
	s_waitcnt lgkmcnt(0)
	v_mul_lo_u32 v4, s0, v8
	v_mul_lo_u32 v5, s1, v7
	v_mad_u64_u32 v[1:2], null, s0, v7, v[1:2]
	v_cmp_gt_u64_e32 vcc_lo, s[4:5], v[7:8]
	v_add3_u32 v2, v5, v2, v4
	v_lshlrev_b64 v[2:3], 2, v[1:2]
	s_and_saveexec_b32 s1, vcc_lo
	s_cbranch_execz .LBB0_11
; %bb.10:
	v_mov_b32_e32 v1, 0
	v_lshlrev_b64 v[4:5], 2, v[0:1]
	v_add_co_u32 v1, s0, s2, v2
	v_add_co_ci_u32_e64 v6, s0, s3, v3, s0
	v_add_co_u32 v4, s0, v1, v4
	v_add_co_ci_u32_e64 v5, s0, v6, v5, s0
	s_clause 0x6
	global_load_dword v1, v[4:5], off
	global_load_dword v6, v[4:5], off offset:176
	global_load_dword v7, v[4:5], off offset:352
	;; [unrolled: 1-line block ×6, first 2 shown]
	s_waitcnt vmcnt(5)
	ds_write2_b32 v16, v1, v6 offset1:44
	s_waitcnt vmcnt(3)
	ds_write2_b32 v16, v7, v8 offset0:88 offset1:132
	s_waitcnt vmcnt(1)
	ds_write2_b32 v16, v9, v10 offset0:176 offset1:220
	s_waitcnt vmcnt(0)
	ds_write_b32 v16, v4 offset:1056
.LBB0_11:
	s_or_b32 exec_lo, exec_lo, s1
	s_waitcnt lgkmcnt(0)
	s_barrier
	buffer_gl0_inv
	ds_read2_b32 v[6:7], v16 offset1:28
	ds_read_b32 v24, v16 offset:1120
	ds_read2_b32 v[14:15], v16 offset0:56 offset1:84
	ds_read2_b32 v[8:9], v16 offset0:224 offset1:252
	ds_read2_b32 v[12:13], v16 offset0:112 offset1:140
	ds_read2_b32 v[10:11], v16 offset0:168 offset1:196
	s_mov_b32 s1, exec_lo
	s_waitcnt lgkmcnt(0)
	s_barrier
	buffer_gl0_inv
	v_pk_add_f16 v22, v7, v24 neg_lo:[0,1] neg_hi:[0,1]
	v_pk_add_f16 v26, v24, v7
	v_pk_add_f16 v21, v14, v9 neg_lo:[0,1] neg_hi:[0,1]
	v_pk_add_f16 v25, v9, v14
	v_pk_add_f16 v17, v15, v8 neg_lo:[0,1] neg_hi:[0,1]
	v_pk_mul_f16 v1, 0xba0c, v22 op_sel_hi:[0,1]
	v_pk_add_f16 v23, v8, v15
	v_pk_mul_f16 v5, 0x3beb, v21 op_sel_hi:[0,1]
	v_pk_add_f16 v18, v12, v11 neg_lo:[0,1] neg_hi:[0,1]
	v_pk_add_f16 v19, v11, v12
	v_pk_fma_f16 v32, 0xb93d, v26, v1 op_sel:[0,0,1] op_sel_hi:[0,1,0]
	v_pk_fma_f16 v34, 0xb93d, v26, v1 op_sel:[0,0,1] op_sel_hi:[0,1,0] neg_lo:[0,0,1] neg_hi:[0,0,1]
	v_pk_mul_f16 v1, 0xb853, v17 op_sel_hi:[0,1]
	v_pk_fma_f16 v30, 0xb08e, v25, v5 op_sel:[0,0,1] op_sel_hi:[0,1,0]
	v_pk_fma_f16 v33, 0xb08e, v25, v5 op_sel:[0,0,1] op_sel_hi:[0,1,0] neg_lo:[0,0,1] neg_hi:[0,0,1]
	v_add_f16_e32 v5, v6, v32
	v_add_f16_sdwa v27, v6, v34 dst_sel:DWORD dst_unused:UNUSED_PAD src0_sel:WORD_1 src1_sel:WORD_1
	v_pk_add_f16 v4, v13, v10 neg_lo:[0,1] neg_hi:[0,1]
	v_pk_mul_f16 v28, 0xb482, v18 op_sel_hi:[0,1]
	v_pk_fma_f16 v35, 0x3abb, v23, v1 op_sel:[0,0,1] op_sel_hi:[0,1,0]
	v_pk_fma_f16 v36, 0x3abb, v23, v1 op_sel:[0,0,1] op_sel_hi:[0,1,0] neg_lo:[0,0,1] neg_hi:[0,0,1]
	v_add_f16_e32 v1, v30, v5
	v_add_f16_sdwa v5, v33, v27 dst_sel:DWORD dst_unused:UNUSED_PAD src0_sel:WORD_1 src1_sel:DWORD
	v_pk_add_f16 v20, v10, v13
	v_pk_mul_f16 v37, 0x3b47, v4 op_sel_hi:[0,1]
	v_pk_fma_f16 v29, 0xbbad, v19, v28 op_sel:[0,0,1] op_sel_hi:[0,1,0]
	v_pk_fma_f16 v31, 0xbbad, v19, v28 op_sel:[0,0,1] op_sel_hi:[0,1,0] neg_lo:[0,0,1] neg_hi:[0,0,1]
	v_add_f16_e32 v1, v35, v1
	v_add_f16_sdwa v5, v36, v5 dst_sel:DWORD dst_unused:UNUSED_PAD src0_sel:WORD_1 src1_sel:DWORD
	v_pk_fma_f16 v27, 0x36a6, v20, v37 op_sel:[0,0,1] op_sel_hi:[0,1,0]
	v_pk_fma_f16 v28, 0x36a6, v20, v37 op_sel:[0,0,1] op_sel_hi:[0,1,0] neg_lo:[0,0,1] neg_hi:[0,0,1]
	v_add_f16_e32 v1, v29, v1
	v_add_f16_sdwa v37, v31, v5 dst_sel:DWORD dst_unused:UNUSED_PAD src0_sel:WORD_1 src1_sel:DWORD
	v_add_f16_e32 v5, v27, v1
	v_add_f16_sdwa v1, v28, v37 dst_sel:DWORD dst_unused:UNUSED_PAD src0_sel:WORD_1 src1_sel:DWORD
	v_cmpx_gt_u32_e32 28, v0
	s_cbranch_execz .LBB0_13
; %bb.12:
	v_mul_f16_e32 v37, 0xbbeb, v22
	v_lshrrev_b32_e32 v38, 16, v26
	v_mov_b32_e32 v43, 0xbbeb
	v_bfi_b32 v32, 0xffff, v34, v32
	v_mul_f16_e32 v34, 0x3482, v21
	v_lshrrev_b32_e32 v39, 16, v25
	v_fmamk_f16 v40, v38, 0xb08e, v37
	v_bfi_b32 v29, 0xffff, v31, v29
	v_mov_b32_e32 v31, 0x3482
	v_mul_f16_sdwa v45, v22, v43 dst_sel:DWORD dst_unused:UNUSED_PAD src0_sel:WORD_1 src1_sel:DWORD
	v_bfi_b32 v30, 0xffff, v33, v30
	v_mul_f16_e32 v33, 0x3b47, v17
	v_lshrrev_b32_e32 v41, 16, v23
	v_fmamk_f16 v42, v39, 0xbbad, v34
	v_add_f16_sdwa v40, v6, v40 dst_sel:DWORD dst_unused:UNUSED_PAD src0_sel:WORD_1 src1_sel:DWORD
	v_bfi_b32 v27, 0xffff, v28, v27
	v_fma_f16 v28, v26, 0xb08e, -v45
	v_mul_f16_sdwa v31, v21, v31 dst_sel:DWORD dst_unused:UNUSED_PAD src0_sel:WORD_1 src1_sel:DWORD
	v_bfi_b32 v35, 0xffff, v36, v35
	v_mul_f16_e32 v36, 0xb853, v18
	v_fmamk_f16 v44, v41, 0x36a6, v33
	v_add_f16_e32 v40, v42, v40
	v_lshrrev_b32_e32 v42, 16, v19
	v_mov_b32_e32 v47, 0x3b47
	v_add_f16_e32 v28, v6, v28
	v_fma_f16 v48, v25, 0xbbad, -v31
	v_mul_f16_e32 v49, 0xbb47, v22
	v_add_f16_e32 v40, v44, v40
	v_fmamk_f16 v44, v42, 0x3abb, v36
	v_lshrrev_b32_e32 v46, 16, v20
	v_mul_f16_sdwa v47, v17, v47 dst_sel:DWORD dst_unused:UNUSED_PAD src0_sel:WORD_1 src1_sel:DWORD
	v_mov_b32_e32 v51, 0xb853
	v_add_f16_e32 v28, v48, v28
	v_fmamk_f16 v48, v38, 0x36a6, v49
	v_mul_f16_e32 v52, 0xba0c, v21
	v_add_f16_e32 v40, v44, v40
	v_mul_f16_e32 v44, 0xb93d, v46
	v_fma_f16 v53, v23, 0x36a6, -v47
	v_mul_f16_sdwa v54, v18, v51 dst_sel:DWORD dst_unused:UNUSED_PAD src0_sel:WORD_1 src1_sel:DWORD
	v_mov_b32_e32 v55, 0xba0c
	v_add_f16_sdwa v48, v6, v48 dst_sel:DWORD dst_unused:UNUSED_PAD src0_sel:WORD_1 src1_sel:DWORD
	v_fmamk_f16 v56, v39, 0xb93d, v52
	v_mul_f16_e32 v57, 0x3482, v17
	v_fmamk_f16 v50, v4, 0xba0c, v44
	v_add_f16_e32 v28, v53, v28
	v_fma_f16 v53, v19, 0x3abb, -v54
	v_mul_f16_sdwa v58, v4, v55 dst_sel:DWORD dst_unused:UNUSED_PAD src0_sel:WORD_1 src1_sel:DWORD
	v_add_f16_e32 v48, v56, v48
	v_fmamk_f16 v56, v41, 0xbbad, v57
	v_mul_f16_e32 v59, 0x3beb, v18
	v_fma_f16 v37, v38, 0xb08e, -v37
	v_fma_f16 v38, v38, 0x36a6, -v49
	v_add_f16_e32 v40, v50, v40
	v_add_f16_e32 v28, v53, v28
	v_fma_f16 v50, v20, 0xb93d, -v58
	v_add_f16_e32 v48, v56, v48
	v_fmamk_f16 v53, v42, 0xb08e, v59
	v_mul_f16_e32 v56, 0x3853, v4
	v_fma_f16 v34, v39, 0xbbad, -v34
	v_add_f16_sdwa v38, v6, v38 dst_sel:DWORD dst_unused:UNUSED_PAD src0_sel:WORD_1 src1_sel:DWORD
	v_fma_f16 v39, v39, 0xb93d, -v52
	v_add_f16_e32 v28, v50, v28
	v_add_f16_e32 v48, v53, v48
	v_fmamk_f16 v50, v46, 0x3abb, v56
	v_mul_f16_sdwa v51, v22, v51 dst_sel:DWORD dst_unused:UNUSED_PAD src0_sel:WORD_1 src1_sel:DWORD
	v_mov_b32_e32 v53, 0xbb47
	v_add_f16_sdwa v37, v6, v37 dst_sel:DWORD dst_unused:UNUSED_PAD src0_sel:WORD_1 src1_sel:DWORD
	v_fmac_f16_e32 v45, 0xb08e, v26
	v_fma_f16 v33, v41, 0x36a6, -v33
	v_add_f16_e32 v38, v39, v38
	v_fma_f16 v41, v41, 0xbbad, -v57
	v_pk_add_f16 v7, v6, v7
	v_add_f16_e32 v48, v50, v48
	v_fma_f16 v50, v26, 0x3abb, -v51
	v_mul_f16_sdwa v53, v21, v53 dst_sel:DWORD dst_unused:UNUSED_PAD src0_sel:WORD_1 src1_sel:DWORD
	v_add_f16_e32 v34, v34, v37
	v_add_f16_e32 v37, v6, v45
	v_fmac_f16_e32 v31, 0xbbad, v25
	v_pk_mul_f16 v49, 0x3abb36a6, v26
	v_add_f16_e32 v38, v41, v38
	v_fma_f16 v41, v42, 0xb08e, -v59
	v_pk_add_f16 v7, v7, v14
	v_add_f16_e32 v50, v6, v50
	v_fma_f16 v60, v25, 0x36a6, -v53
	v_mul_f16_sdwa v43, v17, v43 dst_sel:DWORD dst_unused:UNUSED_PAD src0_sel:WORD_1 src1_sel:DWORD
	v_add_f16_e32 v31, v31, v37
	v_pk_mul_f16 v37, 0x36a6b93d, v25
	v_fmac_f16_e32 v47, 0x36a6, v23
	v_add_f16_e32 v33, v33, v34
	v_pk_fma_f16 v34, 0xbb47b853, v22, v49 op_sel:[0,0,1] op_sel_hi:[1,1,0]
	v_add_f16_e32 v38, v41, v38
	v_fma_f16 v46, v46, 0x3abb, -v56
	v_pk_add_f16 v7, v7, v15
	v_add_f16_e32 v50, v60, v50
	v_fma_f16 v60, v23, 0xb08e, -v43
	v_mul_f16_sdwa v55, v18, v55 dst_sel:DWORD dst_unused:UNUSED_PAD src0_sel:WORD_1 src1_sel:DWORD
	v_pk_mul_f16 v39, 0xb08ebbad, v23
	v_add_f16_e32 v31, v47, v31
	v_alignbit_b32 v47, s0, v34, 16
	v_pk_fma_f16 v57, 0xba0cbb47, v21, v37 op_sel:[0,0,1] op_sel_hi:[1,1,0]
	v_add_f16_e32 v38, v46, v38
	v_pk_fma_f16 v46, 0xbb47b853, v22, v49 op_sel:[0,0,1] op_sel_hi:[1,1,0] neg_lo:[0,1,0] neg_hi:[0,1,0]
	v_fmac_f16_e32 v51, 0x3abb, v26
	v_pk_add_f16 v7, v7, v12
	v_add_f16_e32 v50, v60, v50
	v_fma_f16 v60, v19, 0xb93d, -v55
	v_fma_f16 v36, v42, 0x3abb, -v36
	v_pk_add_f16 v41, v6, v47
	v_alignbit_b32 v42, s0, v57, 16
	v_pk_fma_f16 v47, 0x3482bbeb, v17, v39 op_sel:[0,0,1] op_sel_hi:[1,1,0]
	v_pk_fma_f16 v37, 0xba0cbb47, v21, v37 op_sel:[0,0,1] op_sel_hi:[1,1,0] neg_lo:[0,1,0] neg_hi:[0,1,0]
	v_add_f16_e32 v49, v6, v51
	v_fmac_f16_e32 v53, 0x36a6, v25
	v_bfi_b32 v12, 0xffff, v34, v46
	v_pk_add_f16 v7, v7, v13
	v_add_f16_e32 v50, v60, v50
	v_mov_b32_e32 v60, 0xb482
	v_pk_mul_f16 v52, 0xb93db08e, v19
	v_fmac_f16_e32 v54, 0x3abb, v19
	v_pk_add_f16 v41, v42, v41
	v_alignbit_b32 v42, s0, v47, 16
	v_pk_fma_f16 v39, 0x3482bbeb, v17, v39 op_sel:[0,0,1] op_sel_hi:[1,1,0] neg_lo:[0,1,0] neg_hi:[0,1,0]
	v_add_f16_sdwa v15, v6, v46 dst_sel:DWORD dst_unused:UNUSED_PAD src0_sel:WORD_1 src1_sel:DWORD
	v_add_f16_e32 v34, v53, v49
	v_fmac_f16_e32 v43, 0xb08e, v23
	v_pk_add_f16 v12, v6, v12 op_sel:[1,0] op_sel_hi:[0,1]
	v_bfi_b32 v13, 0xffff, v57, v37
	v_pk_add_f16 v7, v7, v10
	v_mul_f16_sdwa v60, v4, v60 dst_sel:DWORD dst_unused:UNUSED_PAD src0_sel:WORD_1 src1_sel:DWORD
	v_add_f16_e32 v31, v54, v31
	v_pk_mul_f16 v54, 0xbbad3abb, v20
	v_pk_add_f16 v41, v42, v41
	v_pk_fma_f16 v42, 0x3bebba0c, v18, v52 op_sel:[0,0,1] op_sel_hi:[1,1,0]
	v_pk_fma_f16 v51, 0x3bebba0c, v18, v52 op_sel:[0,0,1] op_sel_hi:[1,1,0] neg_lo:[0,1,0] neg_hi:[0,1,0]
	v_add_f16_e32 v15, v37, v15
	v_add_f16_e32 v34, v43, v34
	v_fmac_f16_e32 v55, 0xb93d, v19
	v_pk_add_f16 v10, v13, v12
	v_bfi_b32 v12, 0xffff, v47, v39
	v_pk_add_f16 v7, v7, v11
	v_fma_f16 v61, v20, 0xbbad, -v60
	v_add_f16_e32 v15, v39, v15
	v_pk_fma_f16 v13, 0x3853b482, v4, v54 op_sel:[0,0,1] op_sel_hi:[1,1,0] neg_lo:[0,1,0] neg_hi:[0,1,0]
	v_add_f16_e32 v11, v55, v34
	v_pk_add_f16 v10, v12, v10
	v_bfi_b32 v12, 0xffff, v42, v51
	v_pk_fma_f16 v34, 0x3853b482, v4, v54 op_sel:[0,0,1] op_sel_hi:[1,1,0]
	v_pk_add_f16 v7, v7, v8
	v_fmac_f16_e32 v60, 0xbbad, v20
	v_add_f16_e32 v15, v51, v15
	v_pk_add_f16 v10, v12, v10
	v_bfi_b32 v12, 0xffff, v34, v13
	v_pk_add_f16 v7, v7, v9
	v_add_f16_e32 v9, v60, v11
	v_pk_mul_f16 v11, 0xbbad, v26 op_sel_hi:[0,1]
	v_add_f16_e32 v50, v61, v50
	v_alignbit_b32 v14, s0, v6, 16
	v_add_f16_e32 v8, v13, v15
	v_pk_add_f16 v10, v12, v10
	v_pk_add_f16 v7, v7, v24
	;; [unrolled: 1-line block ×3, first 2 shown]
	v_pk_fma_f16 v15, 0xb482, v22, v11 op_sel:[0,0,1] op_sel_hi:[0,1,0] neg_lo:[0,1,0] neg_hi:[0,1,0]
	v_pk_mul_f16 v24, 0x3abb, v25 op_sel_hi:[0,1]
	v_pk_fma_f16 v11, 0xb482, v22, v11 op_sel:[0,0,1] op_sel_hi:[0,1,0]
	v_mad_u32_u24 v13, v0, 40, v16
	v_alignbit_b32 v25, v48, v10, 16
	v_pack_b32_f16 v10, v50, v10
	v_pk_add_f16 v12, v30, v12
	v_pk_add_f16 v14, v14, v15
	v_pk_fma_f16 v26, 0x3853, v21, v24 op_sel:[0,0,1] op_sel_hi:[0,1,0] neg_lo:[0,1,0] neg_hi:[0,1,0]
	v_pk_mul_f16 v23, 0xb93d, v23 op_sel_hi:[0,1]
	v_alignbit_b32 v15, s0, v15, 16
	v_pk_add_f16 v11, v6, v11 op_sel:[1,0] op_sel_hi:[0,1]
	v_pk_fma_f16 v21, 0x3853, v21, v24 op_sel:[0,0,1] op_sel_hi:[0,1,0]
	ds_write2_b32 v13, v10, v25 offset0:1 offset1:2
	v_pk_add_f16 v10, v35, v12
	v_pk_add_f16 v12, v26, v14
	v_pk_fma_f16 v14, 0xba0c, v17, v23 op_sel:[0,0,1] op_sel_hi:[0,1,0] neg_lo:[0,1,0] neg_hi:[0,1,0]
	v_pk_mul_f16 v19, 0x36a6, v19 op_sel_hi:[0,1]
	v_pk_add_f16 v6, v6, v15
	v_alignbit_b32 v15, s0, v26, 16
	v_pk_add_f16 v11, v21, v11
	v_pk_fma_f16 v17, 0xba0c, v17, v23 op_sel:[0,0,1] op_sel_hi:[0,1,0]
	v_fmac_f16_e32 v58, 0xb93d, v20
	v_pk_add_f16 v12, v14, v12
	v_pk_fma_f16 v21, 0x3b47, v18, v19 op_sel:[0,0,1] op_sel_hi:[0,1,0] neg_lo:[0,1,0] neg_hi:[0,1,0]
	v_pk_mul_f16 v20, 0xb08e, v20 op_sel_hi:[0,1]
	v_pk_add_f16 v6, v15, v6
	v_alignbit_b32 v14, s0, v14, 16
	v_mul_f16_e32 v45, 0xba0c, v4
	v_pk_mul_f16 v56, 0x3853b482, v4
	v_pk_add_f16 v11, v17, v11
	v_pk_fma_f16 v17, 0x3b47, v18, v19 op_sel:[0,0,1] op_sel_hi:[0,1,0]
	v_lshlrev_b32_e32 v18, 16, v41
	v_pk_fma_f16 v15, 0xbbeb, v4, v20 op_sel:[0,0,1] op_sel_hi:[0,1,0] neg_lo:[0,1,0] neg_hi:[0,1,0]
	v_pk_add_f16 v6, v14, v6
	v_alignbit_b32 v14, s0, v21, 16
	v_pk_add_f16 v12, v21, v12
	v_pk_add_f16 v11, v17, v11
	v_pk_add_f16 v17, v44, v45 neg_lo:[0,1] neg_hi:[0,1]
	v_pk_add_f16 v18, v42, v18
	v_pack_b32_f16 v19, v36, v54
	v_bfi_b32 v21, 0xffff, v33, v56
	v_pk_fma_f16 v4, 0xbbeb, v4, v20 op_sel:[0,0,1] op_sel_hi:[0,1,0]
	v_pk_add_f16 v6, v14, v6
	v_alignbit_b32 v14, s0, v15, 16
	v_bfi_b32 v17, 0xffff, v17, v18
	v_pk_add_f16 v18, v19, v21
	v_pk_add_f16 v10, v29, v10
	;; [unrolled: 1-line block ×5, first 2 shown]
	v_add_f16_e32 v31, v58, v31
	v_pk_add_f16 v11, v17, v18
	v_pk_add_f16 v10, v27, v10
	v_pack_b32_f16 v14, v28, v40
	v_alignbit_b32 v12, v12, v4, 16
	v_pack_b32_f16 v4, v6, v4
	v_perm_b32 v6, v1, v5, 0x5040100
	v_alignbit_b32 v15, v38, v11, 16
	v_pack_b32_f16 v11, v31, v11
	v_pack_b32_f16 v8, v9, v8
	ds_write2_b32 v13, v14, v10 offset0:3 offset1:4
	ds_write2_b32 v13, v4, v12 offset0:5 offset1:6
	ds_write2_b32 v13, v7, v6 offset1:7
	ds_write2_b32 v13, v11, v15 offset0:8 offset1:9
	ds_write_b32 v13, v8 offset:40
.LBB0_13:
	s_or_b32 exec_lo, exec_lo, s1
	v_and_b32_e32 v4, 0xff, v0
	v_mov_b32_e32 v7, 6
	s_waitcnt lgkmcnt(0)
	s_barrier
	buffer_gl0_inv
	v_mul_lo_u16 v4, 0x75, v4
	v_mov_b32_e32 v21, 0x134
	v_mov_b32_e32 v22, 2
	v_cmp_gt_u32_e64 s0, 33, v0
	v_lshrrev_b16 v4, 8, v4
	v_sub_nc_u16 v6, v0, v4
	v_lshrrev_b16 v6, 1, v6
	v_and_b32_e32 v6, 0x7f, v6
	v_add_nc_u16 v4, v6, v4
	v_lshrrev_b16 v4, 3, v4
	v_mul_lo_u16 v6, v4, 11
	v_mul_u32_u24_sdwa v4, v4, v21 dst_sel:DWORD dst_unused:UNUSED_PAD src0_sel:WORD_0 src1_sel:DWORD
	v_sub_nc_u16 v19, v0, v6
	v_mul_u32_u24_sdwa v6, v19, v7 dst_sel:DWORD dst_unused:UNUSED_PAD src0_sel:BYTE_0 src1_sel:DWORD
	v_lshlrev_b32_sdwa v19, v22, v19 dst_sel:DWORD dst_unused:UNUSED_PAD src0_sel:DWORD src1_sel:BYTE_0
	v_lshlrev_b32_e32 v10, 2, v6
	v_add3_u32 v19, 0, v4, v19
	s_clause 0x1
	global_load_dwordx4 v[6:9], v10, s[8:9]
	global_load_dwordx2 v[10:11], v10, s[8:9] offset:16
	ds_read2_b32 v[12:13], v16 offset1:44
	ds_read2_b32 v[14:15], v16 offset0:88 offset1:132
	ds_read2_b32 v[17:18], v16 offset0:176 offset1:220
	ds_read_b32 v20, v16 offset:1056
	s_waitcnt vmcnt(0) lgkmcnt(0)
	s_barrier
	buffer_gl0_inv
	v_lshrrev_b32_e32 v23, 16, v13
	v_lshrrev_b32_e32 v24, 16, v14
	;; [unrolled: 1-line block ×6, first 2 shown]
	v_mul_f16_sdwa v4, v6, v23 dst_sel:DWORD dst_unused:UNUSED_PAD src0_sel:WORD_1 src1_sel:DWORD
	v_mul_f16_sdwa v27, v6, v13 dst_sel:DWORD dst_unused:UNUSED_PAD src0_sel:WORD_1 src1_sel:DWORD
	v_mul_f16_sdwa v28, v7, v24 dst_sel:DWORD dst_unused:UNUSED_PAD src0_sel:WORD_1 src1_sel:DWORD
	v_mul_f16_sdwa v29, v7, v14 dst_sel:DWORD dst_unused:UNUSED_PAD src0_sel:WORD_1 src1_sel:DWORD
	v_mul_f16_sdwa v30, v8, v21 dst_sel:DWORD dst_unused:UNUSED_PAD src0_sel:WORD_1 src1_sel:DWORD
	v_mul_f16_sdwa v31, v8, v15 dst_sel:DWORD dst_unused:UNUSED_PAD src0_sel:WORD_1 src1_sel:DWORD
	v_mul_f16_sdwa v32, v9, v22 dst_sel:DWORD dst_unused:UNUSED_PAD src0_sel:WORD_1 src1_sel:DWORD
	v_mul_f16_sdwa v33, v9, v17 dst_sel:DWORD dst_unused:UNUSED_PAD src0_sel:WORD_1 src1_sel:DWORD
	v_mul_f16_sdwa v34, v10, v25 dst_sel:DWORD dst_unused:UNUSED_PAD src0_sel:WORD_1 src1_sel:DWORD
	v_mul_f16_sdwa v35, v10, v18 dst_sel:DWORD dst_unused:UNUSED_PAD src0_sel:WORD_1 src1_sel:DWORD
	v_mul_f16_sdwa v36, v11, v26 dst_sel:DWORD dst_unused:UNUSED_PAD src0_sel:WORD_1 src1_sel:DWORD
	v_mul_f16_sdwa v37, v11, v20 dst_sel:DWORD dst_unused:UNUSED_PAD src0_sel:WORD_1 src1_sel:DWORD
	v_fma_f16 v4, v6, v13, -v4
	v_fmac_f16_e32 v27, v6, v23
	v_fma_f16 v6, v7, v14, -v28
	v_fmac_f16_e32 v29, v7, v24
	;; [unrolled: 2-line block ×3, first 2 shown]
	v_fma_f16 v8, v9, v17, -v32
	v_fma_f16 v13, v11, v20, -v36
	v_fmac_f16_e32 v37, v11, v26
	v_fmac_f16_e32 v33, v9, v22
	v_fma_f16 v9, v10, v18, -v34
	v_fmac_f16_e32 v35, v10, v25
	v_add_f16_e32 v10, v4, v13
	v_add_f16_e32 v11, v27, v37
	v_sub_f16_e32 v4, v4, v13
	v_add_f16_e32 v14, v6, v9
	v_add_f16_e32 v15, v29, v35
	v_sub_f16_e32 v13, v27, v37
	v_sub_f16_e32 v6, v6, v9
	;; [unrolled: 1-line block ×3, first 2 shown]
	v_add_f16_e32 v17, v7, v8
	v_add_f16_e32 v18, v31, v33
	v_sub_f16_e32 v7, v8, v7
	v_sub_f16_e32 v8, v33, v31
	v_add_f16_e32 v20, v14, v10
	v_add_f16_e32 v21, v15, v11
	v_sub_f16_e32 v22, v14, v10
	v_sub_f16_e32 v23, v15, v11
	;; [unrolled: 1-line block ×6, first 2 shown]
	v_add_f16_e32 v24, v7, v6
	v_add_f16_e32 v25, v8, v9
	v_sub_f16_e32 v26, v7, v6
	v_sub_f16_e32 v27, v8, v9
	;; [unrolled: 1-line block ×4, first 2 shown]
	v_add_f16_e32 v17, v17, v20
	v_add_f16_e32 v18, v18, v21
	v_sub_f16_e32 v7, v4, v7
	v_sub_f16_e32 v8, v13, v8
	v_add_f16_e32 v4, v24, v4
	v_add_f16_e32 v13, v25, v13
	v_mul_f16_e32 v10, 0x3a52, v10
	v_mul_f16_e32 v11, 0x3a52, v11
	;; [unrolled: 1-line block ×8, first 2 shown]
	v_add_f16_e32 v28, v17, v12
	v_add_f16_sdwa v12, v18, v12 dst_sel:DWORD dst_unused:UNUSED_PAD src0_sel:DWORD src1_sel:WORD_1
	v_fmamk_f16 v14, v14, 0x2b26, v10
	v_fmamk_f16 v15, v15, 0x2b26, v11
	v_fma_f16 v20, v22, 0x39e0, -v20
	v_fma_f16 v21, v23, 0x39e0, -v21
	;; [unrolled: 1-line block ×4, first 2 shown]
	v_fmamk_f16 v22, v7, 0x3574, v24
	v_fmamk_f16 v23, v8, 0x3574, v25
	v_fma_f16 v24, v6, 0x3b00, -v24
	v_fma_f16 v6, v9, 0x3b00, -v25
	;; [unrolled: 1-line block ×4, first 2 shown]
	v_fmamk_f16 v8, v17, 0xbcab, v28
	v_fmamk_f16 v17, v18, 0xbcab, v12
	v_fmac_f16_e32 v22, 0x370e, v4
	v_fmac_f16_e32 v23, 0x370e, v13
	;; [unrolled: 1-line block ×4, first 2 shown]
	v_add_f16_e32 v4, v14, v8
	v_add_f16_e32 v14, v15, v17
	v_fmac_f16_e32 v6, 0x370e, v13
	v_fmac_f16_e32 v7, 0x370e, v13
	v_pack_b32_f16 v18, v28, v12
	v_add_f16_e32 v12, v20, v8
	v_add_f16_e32 v8, v10, v8
	;; [unrolled: 1-line block ×5, first 2 shown]
	v_sub_f16_e32 v17, v14, v22
	v_add_f16_e32 v20, v7, v8
	v_sub_f16_e32 v21, v10, v9
	v_sub_f16_e32 v25, v12, v6
	v_add_f16_e32 v26, v24, v11
	v_add_f16_e32 v6, v6, v12
	v_sub_f16_e32 v12, v11, v24
	v_sub_f16_e32 v7, v8, v7
	v_add_f16_e32 v13, v9, v10
	v_sub_f16_e32 v4, v4, v23
	v_add_f16_e32 v14, v22, v14
	v_pack_b32_f16 v8, v15, v17
	v_pack_b32_f16 v9, v20, v21
	v_pack_b32_f16 v10, v25, v26
	v_pack_b32_f16 v11, v6, v12
	v_pack_b32_f16 v15, v7, v13
	v_pack_b32_f16 v17, v4, v14
	ds_write2_b32 v19, v18, v8 offset1:11
	ds_write2_b32 v19, v9, v10 offset0:22 offset1:33
	ds_write2_b32 v19, v11, v15 offset0:44 offset1:55
	ds_write_b32 v19, v17 offset:264
	s_waitcnt lgkmcnt(0)
	s_barrier
	buffer_gl0_inv
	ds_read2_b32 v[8:9], v16 offset1:77
	ds_read2_b32 v[10:11], v16 offset0:154 offset1:231
	s_and_saveexec_b32 s1, s0
	s_cbranch_execz .LBB0_15
; %bb.14:
	v_add_nc_u32_e32 v1, 0x200, v16
	ds_read2_b32 v[6:7], v16 offset0:44 offset1:121
	ds_read2_b32 v[4:5], v1 offset0:70 offset1:147
	s_waitcnt lgkmcnt(1)
	v_lshrrev_b32_e32 v12, 16, v6
	v_lshrrev_b32_e32 v13, 16, v7
	s_waitcnt lgkmcnt(0)
	v_lshrrev_b32_e32 v14, 16, v4
	v_lshrrev_b32_e32 v1, 16, v5
.LBB0_15:
	s_or_b32 exec_lo, exec_lo, s1
	v_mul_u32_u24_e32 v15, 3, v0
	s_waitcnt lgkmcnt(0)
	v_lshrrev_b32_e32 v20, 16, v10
	v_lshrrev_b32_e32 v22, 16, v11
	v_lshrrev_b32_e32 v21, 16, v8
	v_lshlrev_b32_e32 v15, 2, v15
	global_load_dwordx3 v[17:19], v15, s[8:9] offset:264
	v_lshrrev_b32_e32 v15, 16, v9
	s_waitcnt vmcnt(0)
	s_barrier
	buffer_gl0_inv
	v_mul_f16_sdwa v23, v17, v15 dst_sel:DWORD dst_unused:UNUSED_PAD src0_sel:WORD_1 src1_sel:DWORD
	v_mul_f16_sdwa v24, v17, v9 dst_sel:DWORD dst_unused:UNUSED_PAD src0_sel:WORD_1 src1_sel:DWORD
	;; [unrolled: 1-line block ×6, first 2 shown]
	v_fma_f16 v9, v17, v9, -v23
	v_fmac_f16_e32 v24, v17, v15
	v_fma_f16 v10, v18, v10, -v25
	v_fmac_f16_e32 v26, v18, v20
	;; [unrolled: 2-line block ×3, first 2 shown]
	v_sub_f16_e32 v10, v8, v10
	v_sub_f16_e32 v15, v21, v26
	;; [unrolled: 1-line block ×4, first 2 shown]
	v_fma_f16 v8, v8, 2.0, -v10
	v_fma_f16 v18, v21, 2.0, -v15
	;; [unrolled: 1-line block ×4, first 2 shown]
	v_sub_f16_e32 v17, v10, v17
	v_add_f16_e32 v11, v15, v11
	v_sub_f16_e32 v9, v8, v9
	v_sub_f16_e32 v19, v18, v19
	v_fma_f16 v10, v10, 2.0, -v17
	v_fma_f16 v15, v15, 2.0, -v11
	v_pack_b32_f16 v11, v17, v11
	v_fma_f16 v8, v8, 2.0, -v9
	v_fma_f16 v18, v18, 2.0, -v19
	v_pack_b32_f16 v9, v9, v19
	v_pack_b32_f16 v10, v10, v15
	;; [unrolled: 1-line block ×3, first 2 shown]
	ds_write2_b32 v16, v8, v10 offset1:77
	ds_write2_b32 v16, v9, v11 offset0:154 offset1:231
	s_and_saveexec_b32 s1, s0
	s_cbranch_execz .LBB0_17
; %bb.16:
	v_add_nc_u32_e32 v8, 44, v0
	v_subrev_nc_u32_e32 v9, 33, v0
	v_cndmask_b32_e64 v8, v9, v8, s0
	v_mov_b32_e32 v9, 0
	v_mul_i32_i24_e32 v8, 3, v8
	v_lshlrev_b64 v[8:9], 2, v[8:9]
	v_add_co_u32 v8, s0, s8, v8
	v_add_co_ci_u32_e64 v9, s0, s9, v9, s0
	global_load_dwordx3 v[8:10], v[8:9], off offset:264
	s_waitcnt vmcnt(0)
	v_mul_f16_sdwa v11, v14, v9 dst_sel:DWORD dst_unused:UNUSED_PAD src0_sel:DWORD src1_sel:WORD_1
	v_mul_f16_sdwa v15, v7, v8 dst_sel:DWORD dst_unused:UNUSED_PAD src0_sel:DWORD src1_sel:WORD_1
	;; [unrolled: 1-line block ×6, first 2 shown]
	v_fma_f16 v4, v4, v9, -v11
	v_fmac_f16_e32 v15, v13, v8
	v_fma_f16 v7, v7, v8, -v18
	v_fma_f16 v5, v5, v10, -v19
	v_fmac_f16_e32 v20, v14, v9
	v_fmac_f16_e32 v17, v1, v10
	v_sub_f16_e32 v1, v6, v4
	v_add_nc_u32_e32 v11, 0x200, v16
	v_sub_f16_e32 v4, v7, v5
	v_sub_f16_e32 v5, v12, v20
	;; [unrolled: 1-line block ×3, first 2 shown]
	v_fma_f16 v6, v6, 2.0, -v1
	v_fma_f16 v7, v7, 2.0, -v4
	;; [unrolled: 1-line block ×4, first 2 shown]
	v_sub_f16_e32 v8, v1, v8
	v_add_f16_e32 v4, v5, v4
	v_sub_f16_e32 v7, v6, v7
	v_sub_f16_e32 v10, v9, v10
	v_fma_f16 v1, v1, 2.0, -v8
	v_fma_f16 v5, v5, 2.0, -v4
	;; [unrolled: 1-line block ×3, first 2 shown]
	v_pack_b32_f16 v4, v8, v4
	v_fma_f16 v9, v9, 2.0, -v10
	v_pack_b32_f16 v1, v1, v5
	v_pack_b32_f16 v5, v6, v9
	;; [unrolled: 1-line block ×3, first 2 shown]
	ds_write2_b32 v16, v5, v1 offset0:44 offset1:121
	ds_write2_b32 v11, v6, v4 offset0:70 offset1:147
.LBB0_17:
	s_or_b32 exec_lo, exec_lo, s1
	s_waitcnt lgkmcnt(0)
	s_barrier
	buffer_gl0_inv
	s_and_saveexec_b32 s0, vcc_lo
	s_cbranch_execz .LBB0_19
; %bb.18:
	ds_read2_b32 v[4:5], v16 offset1:44
	ds_read2_b32 v[6:7], v16 offset0:88 offset1:132
	ds_read2_b32 v[8:9], v16 offset0:176 offset1:220
	ds_read_b32 v10, v16 offset:1056
	v_mov_b32_e32 v1, 0
	v_add_co_u32 v2, vcc_lo, s2, v2
	v_add_co_ci_u32_e32 v3, vcc_lo, s3, v3, vcc_lo
	v_lshlrev_b64 v[0:1], 2, v[0:1]
	v_add_co_u32 v0, vcc_lo, v2, v0
	v_add_co_ci_u32_e32 v1, vcc_lo, v3, v1, vcc_lo
	s_waitcnt lgkmcnt(3)
	global_store_dword v[0:1], v4, off
	global_store_dword v[0:1], v5, off offset:176
	s_waitcnt lgkmcnt(2)
	global_store_dword v[0:1], v6, off offset:352
	global_store_dword v[0:1], v7, off offset:528
	s_waitcnt lgkmcnt(1)
	global_store_dword v[0:1], v8, off offset:704
	;; [unrolled: 3-line block ×3, first 2 shown]
.LBB0_19:
	s_endpgm
	.section	.rodata,"a",@progbits
	.p2align	6, 0x0
	.amdhsa_kernel fft_rtc_fwd_len308_factors_11_7_4_wgs_44_tpt_44_half_ip_CI_unitstride_sbrr_dirReg
		.amdhsa_group_segment_fixed_size 0
		.amdhsa_private_segment_fixed_size 0
		.amdhsa_kernarg_size 88
		.amdhsa_user_sgpr_count 6
		.amdhsa_user_sgpr_private_segment_buffer 1
		.amdhsa_user_sgpr_dispatch_ptr 0
		.amdhsa_user_sgpr_queue_ptr 0
		.amdhsa_user_sgpr_kernarg_segment_ptr 1
		.amdhsa_user_sgpr_dispatch_id 0
		.amdhsa_user_sgpr_flat_scratch_init 0
		.amdhsa_user_sgpr_private_segment_size 0
		.amdhsa_wavefront_size32 1
		.amdhsa_uses_dynamic_stack 0
		.amdhsa_system_sgpr_private_segment_wavefront_offset 0
		.amdhsa_system_sgpr_workgroup_id_x 1
		.amdhsa_system_sgpr_workgroup_id_y 0
		.amdhsa_system_sgpr_workgroup_id_z 0
		.amdhsa_system_sgpr_workgroup_info 0
		.amdhsa_system_vgpr_workitem_id 0
		.amdhsa_next_free_vgpr 62
		.amdhsa_next_free_sgpr 21
		.amdhsa_reserve_vcc 1
		.amdhsa_reserve_flat_scratch 0
		.amdhsa_float_round_mode_32 0
		.amdhsa_float_round_mode_16_64 0
		.amdhsa_float_denorm_mode_32 3
		.amdhsa_float_denorm_mode_16_64 3
		.amdhsa_dx10_clamp 1
		.amdhsa_ieee_mode 1
		.amdhsa_fp16_overflow 0
		.amdhsa_workgroup_processor_mode 1
		.amdhsa_memory_ordered 1
		.amdhsa_forward_progress 0
		.amdhsa_shared_vgpr_count 0
		.amdhsa_exception_fp_ieee_invalid_op 0
		.amdhsa_exception_fp_denorm_src 0
		.amdhsa_exception_fp_ieee_div_zero 0
		.amdhsa_exception_fp_ieee_overflow 0
		.amdhsa_exception_fp_ieee_underflow 0
		.amdhsa_exception_fp_ieee_inexact 0
		.amdhsa_exception_int_div_zero 0
	.end_amdhsa_kernel
	.text
.Lfunc_end0:
	.size	fft_rtc_fwd_len308_factors_11_7_4_wgs_44_tpt_44_half_ip_CI_unitstride_sbrr_dirReg, .Lfunc_end0-fft_rtc_fwd_len308_factors_11_7_4_wgs_44_tpt_44_half_ip_CI_unitstride_sbrr_dirReg
                                        ; -- End function
	.section	.AMDGPU.csdata,"",@progbits
; Kernel info:
; codeLenInByte = 5440
; NumSgprs: 23
; NumVgprs: 62
; ScratchSize: 0
; MemoryBound: 0
; FloatMode: 240
; IeeeMode: 1
; LDSByteSize: 0 bytes/workgroup (compile time only)
; SGPRBlocks: 2
; VGPRBlocks: 7
; NumSGPRsForWavesPerEU: 23
; NumVGPRsForWavesPerEU: 62
; Occupancy: 16
; WaveLimiterHint : 1
; COMPUTE_PGM_RSRC2:SCRATCH_EN: 0
; COMPUTE_PGM_RSRC2:USER_SGPR: 6
; COMPUTE_PGM_RSRC2:TRAP_HANDLER: 0
; COMPUTE_PGM_RSRC2:TGID_X_EN: 1
; COMPUTE_PGM_RSRC2:TGID_Y_EN: 0
; COMPUTE_PGM_RSRC2:TGID_Z_EN: 0
; COMPUTE_PGM_RSRC2:TIDIG_COMP_CNT: 0
	.text
	.p2alignl 6, 3214868480
	.fill 48, 4, 3214868480
	.type	__hip_cuid_786b715da2b5402d,@object ; @__hip_cuid_786b715da2b5402d
	.section	.bss,"aw",@nobits
	.globl	__hip_cuid_786b715da2b5402d
__hip_cuid_786b715da2b5402d:
	.byte	0                               ; 0x0
	.size	__hip_cuid_786b715da2b5402d, 1

	.ident	"AMD clang version 19.0.0git (https://github.com/RadeonOpenCompute/llvm-project roc-6.4.0 25133 c7fe45cf4b819c5991fe208aaa96edf142730f1d)"
	.section	".note.GNU-stack","",@progbits
	.addrsig
	.addrsig_sym __hip_cuid_786b715da2b5402d
	.amdgpu_metadata
---
amdhsa.kernels:
  - .args:
      - .actual_access:  read_only
        .address_space:  global
        .offset:         0
        .size:           8
        .value_kind:     global_buffer
      - .offset:         8
        .size:           8
        .value_kind:     by_value
      - .actual_access:  read_only
        .address_space:  global
        .offset:         16
        .size:           8
        .value_kind:     global_buffer
      - .actual_access:  read_only
        .address_space:  global
        .offset:         24
        .size:           8
        .value_kind:     global_buffer
      - .offset:         32
        .size:           8
        .value_kind:     by_value
      - .actual_access:  read_only
        .address_space:  global
        .offset:         40
        .size:           8
        .value_kind:     global_buffer
      - .actual_access:  read_only
        .address_space:  global
        .offset:         48
        .size:           8
        .value_kind:     global_buffer
      - .offset:         56
        .size:           4
        .value_kind:     by_value
      - .actual_access:  read_only
        .address_space:  global
        .offset:         64
        .size:           8
        .value_kind:     global_buffer
      - .actual_access:  read_only
        .address_space:  global
        .offset:         72
        .size:           8
        .value_kind:     global_buffer
      - .address_space:  global
        .offset:         80
        .size:           8
        .value_kind:     global_buffer
    .group_segment_fixed_size: 0
    .kernarg_segment_align: 8
    .kernarg_segment_size: 88
    .language:       OpenCL C
    .language_version:
      - 2
      - 0
    .max_flat_workgroup_size: 44
    .name:           fft_rtc_fwd_len308_factors_11_7_4_wgs_44_tpt_44_half_ip_CI_unitstride_sbrr_dirReg
    .private_segment_fixed_size: 0
    .sgpr_count:     23
    .sgpr_spill_count: 0
    .symbol:         fft_rtc_fwd_len308_factors_11_7_4_wgs_44_tpt_44_half_ip_CI_unitstride_sbrr_dirReg.kd
    .uniform_work_group_size: 1
    .uses_dynamic_stack: false
    .vgpr_count:     62
    .vgpr_spill_count: 0
    .wavefront_size: 32
    .workgroup_processor_mode: 1
amdhsa.target:   amdgcn-amd-amdhsa--gfx1030
amdhsa.version:
  - 1
  - 2
...

	.end_amdgpu_metadata
